;; amdgpu-corpus repo=llvm/llvm-project kind=harvested arch=n/a opt=n/a
// NOTE: Assertions have been autogenerated by utils/update_mc_test_checks.py UTC_ARGS: --version 5
// RUN: llvm-mc -triple=amdgcn -mcpu=gfx1170 -mattr=-real-true16 -show-encoding %s | FileCheck --check-prefix=GFX1170 %s

v_cvt_f32_bf8_e64 v1, s3
// GFX1170: v_cvt_f32_bf8_e64 v1, s3                ; encoding: [0x01,0x00,0xed,0xd5,0x03,0x00,0x01,0x02]

v_cvt_f32_bf8_e64 v1, s3 byte_sel:1
// GFX1170: v_cvt_f32_bf8_e64 v1, s3 byte_sel:1     ; encoding: [0x01,0x10,0xed,0xd5,0x03,0x00,0x01,0x02]

v_cvt_f32_bf8_e64 v1, s3 byte_sel:2
// GFX1170: v_cvt_f32_bf8_e64 v1, s3 byte_sel:2     ; encoding: [0x01,0x08,0xed,0xd5,0x03,0x00,0x01,0x02]
	;; [unrolled: 3-line block ×3, first 2 shown]

v_cvt_f32_bf8_e64 v1, 3
// GFX1170: v_cvt_f32_bf8_e64 v1, 3                 ; encoding: [0x01,0x00,0xed,0xd5,0x83,0x00,0x01,0x02]

v_cvt_f32_bf8_e64 v1, 3 byte_sel:1
// GFX1170: v_cvt_f32_bf8_e64 v1, 3 byte_sel:1      ; encoding: [0x01,0x10,0xed,0xd5,0x83,0x00,0x01,0x02]

v_cvt_f32_bf8_e64 v1, 3 byte_sel:2
// GFX1170: v_cvt_f32_bf8_e64 v1, 3 byte_sel:2      ; encoding: [0x01,0x08,0xed,0xd5,0x83,0x00,0x01,0x02]

v_cvt_f32_bf8_e64 v1, 3 byte_sel:3
// GFX1170: v_cvt_f32_bf8_e64 v1, 3 byte_sel:3      ; encoding: [0x01,0x18,0xed,0xd5,0x83,0x00,0x01,0x02]

v_cvt_f32_bf8_e64 v1, v3
// GFX1170: v_cvt_f32_bf8_e64 v1, v3                ; encoding: [0x01,0x00,0xed,0xd5,0x03,0x01,0x01,0x02]

v_cvt_f32_bf8_e64 v1, v3 byte_sel:1
// GFX1170: v_cvt_f32_bf8_e64 v1, v3 byte_sel:1     ; encoding: [0x01,0x10,0xed,0xd5,0x03,0x01,0x01,0x02]

v_cvt_f32_bf8_e64 v1, v3 byte_sel:2
// GFX1170: v_cvt_f32_bf8_e64 v1, v3 byte_sel:2     ; encoding: [0x01,0x08,0xed,0xd5,0x03,0x01,0x01,0x02]

v_cvt_f32_bf8_e64 v1, v3 byte_sel:3
// GFX1170: v_cvt_f32_bf8_e64 v1, v3 byte_sel:3     ; encoding: [0x01,0x18,0xed,0xd5,0x03,0x01,0x01,0x02]

v_cvt_f32_fp8_e64 v1, s3
// GFX1170: v_cvt_f32_fp8_e64 v1, s3                ; encoding: [0x01,0x00,0xec,0xd5,0x03,0x00,0x01,0x02]

v_cvt_f32_fp8_e64 v1, s3 byte_sel:1
// GFX1170: v_cvt_f32_fp8_e64 v1, s3 byte_sel:1     ; encoding: [0x01,0x10,0xec,0xd5,0x03,0x00,0x01,0x02]

v_cvt_f32_fp8_e64 v1, s3 byte_sel:2
// GFX1170: v_cvt_f32_fp8_e64 v1, s3 byte_sel:2     ; encoding: [0x01,0x08,0xec,0xd5,0x03,0x00,0x01,0x02]
	;; [unrolled: 3-line block ×3, first 2 shown]

v_cvt_f32_fp8_e64 v1, 3
// GFX1170: v_cvt_f32_fp8_e64 v1, 3                 ; encoding: [0x01,0x00,0xec,0xd5,0x83,0x00,0x01,0x02]

v_cvt_f32_fp8_e64 v1, 3 byte_sel:1
// GFX1170: v_cvt_f32_fp8_e64 v1, 3 byte_sel:1      ; encoding: [0x01,0x10,0xec,0xd5,0x83,0x00,0x01,0x02]

v_cvt_f32_fp8_e64 v1, 3 byte_sel:2
// GFX1170: v_cvt_f32_fp8_e64 v1, 3 byte_sel:2      ; encoding: [0x01,0x08,0xec,0xd5,0x83,0x00,0x01,0x02]
	;; [unrolled: 3-line block ×3, first 2 shown]

v_cvt_f32_fp8_e64 v1, v3
// GFX1170: v_cvt_f32_fp8_e64 v1, v3                ; encoding: [0x01,0x00,0xec,0xd5,0x03,0x01,0x01,0x02]

v_cvt_f32_fp8_e64 v1, v3 byte_sel:1
// GFX1170: v_cvt_f32_fp8_e64 v1, v3 byte_sel:1     ; encoding: [0x01,0x10,0xec,0xd5,0x03,0x01,0x01,0x02]

v_cvt_f32_fp8_e64 v1, v3 byte_sel:2
// GFX1170: v_cvt_f32_fp8_e64 v1, v3 byte_sel:2     ; encoding: [0x01,0x08,0xec,0xd5,0x03,0x01,0x01,0x02]
	;; [unrolled: 3-line block ×3, first 2 shown]

v_cvt_pk_f32_bf8_e64 v[2:3], s3
// GFX1170: v_cvt_pk_f32_bf8_e64 v[2:3], s3         ; encoding: [0x02,0x00,0xef,0xd5,0x03,0x00,0x01,0x02]

v_cvt_pk_f32_bf8_e64 v[2:3], s3 op_sel:[1,0]
// GFX1170: v_cvt_pk_f32_bf8_e64 v[2:3], s3 op_sel:[1,0] ; encoding: [0x02,0x08,0xef,0xd5,0x03,0x00,0x01,0x02]

v_cvt_pk_f32_bf8_e64 v[2:3], 3
// GFX1170: v_cvt_pk_f32_bf8_e64 v[2:3], 3          ; encoding: [0x02,0x00,0xef,0xd5,0x83,0x00,0x01,0x02]

v_cvt_pk_f32_bf8_e64 v[2:3], 3 op_sel:[1,0]
// GFX1170: v_cvt_pk_f32_bf8_e64 v[2:3], 3 op_sel:[1,0] ; encoding: [0x02,0x08,0xef,0xd5,0x83,0x00,0x01,0x02]

v_cvt_pk_f32_bf8_e64 v[2:3], v3
// GFX1170: v_cvt_pk_f32_bf8_e64 v[2:3], v3         ; encoding: [0x02,0x00,0xef,0xd5,0x03,0x01,0x01,0x02]

v_cvt_pk_f32_bf8_e64 v[2:3], v3 op_sel:[1,0]
// GFX1170: v_cvt_pk_f32_bf8_e64 v[2:3], v3 op_sel:[1,0] ; encoding: [0x02,0x08,0xef,0xd5,0x03,0x01,0x01,0x02]

v_cvt_pk_f32_fp8_e64 v[2:3], s3
// GFX1170: v_cvt_pk_f32_fp8_e64 v[2:3], s3         ; encoding: [0x02,0x00,0xee,0xd5,0x03,0x00,0x01,0x02]

v_cvt_pk_f32_fp8_e64 v[2:3], s3 op_sel:[1,0]
// GFX1170: v_cvt_pk_f32_fp8_e64 v[2:3], s3 op_sel:[1,0] ; encoding: [0x02,0x08,0xee,0xd5,0x03,0x00,0x01,0x02]

v_cvt_pk_f32_fp8_e64 v[2:3], 3
// GFX1170: v_cvt_pk_f32_fp8_e64 v[2:3], 3          ; encoding: [0x02,0x00,0xee,0xd5,0x83,0x00,0x01,0x02]

v_cvt_pk_f32_fp8_e64 v[2:3], 3 op_sel:[1,0]
// GFX1170: v_cvt_pk_f32_fp8_e64 v[2:3], 3 op_sel:[1,0] ; encoding: [0x02,0x08,0xee,0xd5,0x83,0x00,0x01,0x02]

v_cvt_pk_f32_fp8_e64 v[2:3], v3
// GFX1170: v_cvt_pk_f32_fp8_e64 v[2:3], v3         ; encoding: [0x02,0x00,0xee,0xd5,0x03,0x01,0x01,0x02]

v_cvt_pk_f32_fp8_e64 v[2:3], v3 op_sel:[1,0]
// GFX1170: v_cvt_pk_f32_fp8_e64 v[2:3], v3 op_sel:[1,0] ; encoding: [0x02,0x08,0xee,0xd5,0x03,0x01,0x01,0x02]

v_cvt_pk_f32_bf8_e64 v[3:4], s3
// GFX1170: v_cvt_pk_f32_bf8_e64 v[3:4], s3         ; encoding: [0x03,0x00,0xef,0xd5,0x03,0x00,0x01,0x02]

v_cvt_pk_f32_bf8_e64 v[3:4], s3 op_sel:[1,0]
// GFX1170: v_cvt_pk_f32_bf8_e64 v[3:4], s3 op_sel:[1,0] ; encoding: [0x03,0x08,0xef,0xd5,0x03,0x00,0x01,0x02]

v_cvt_pk_f32_bf8_e64 v[3:4], 3 op_sel:[1,0]
// GFX1170: v_cvt_pk_f32_bf8_e64 v[3:4], 3 op_sel:[1,0] ; encoding: [0x03,0x08,0xef,0xd5,0x83,0x00,0x01,0x02]

v_cvt_pk_f32_bf8_e64 v[3:4], v3
// GFX1170: v_cvt_pk_f32_bf8_e64 v[3:4], v3         ; encoding: [0x03,0x00,0xef,0xd5,0x03,0x01,0x01,0x02]

v_cvt_pk_f32_bf8_e64 v[3:4], v3 op_sel:[1,0]
// GFX1170: v_cvt_pk_f32_bf8_e64 v[3:4], v3 op_sel:[1,0] ; encoding: [0x03,0x08,0xef,0xd5,0x03,0x01,0x01,0x02]

v_cvt_pk_f32_fp8_e64 v[3:4], s3
// GFX1170: v_cvt_pk_f32_fp8_e64 v[3:4], s3         ; encoding: [0x03,0x00,0xee,0xd5,0x03,0x00,0x01,0x02]

v_cvt_pk_f32_fp8_e64 v[3:4], 3
// GFX1170: v_cvt_pk_f32_fp8_e64 v[3:4], 3          ; encoding: [0x03,0x00,0xee,0xd5,0x83,0x00,0x01,0x02]

v_cvt_pk_f32_fp8_e64 v[3:4], 3 op_sel:[1,0]
// GFX1170: v_cvt_pk_f32_fp8_e64 v[3:4], 3 op_sel:[1,0] ; encoding: [0x03,0x08,0xee,0xd5,0x83,0x00,0x01,0x02]

v_cvt_pk_f32_fp8_e64 v[3:4], v3
// GFX1170: v_cvt_pk_f32_fp8_e64 v[3:4], v3         ; encoding: [0x03,0x00,0xee,0xd5,0x03,0x01,0x01,0x02]

v_cvt_pk_f32_fp8_e64 v[3:4], v3 op_sel:[1,0]
// GFX1170: v_cvt_pk_f32_fp8_e64 v[3:4], v3 op_sel:[1,0] ; encoding: [0x03,0x08,0xee,0xd5,0x03,0x01,0x01,0x02]
